;; amdgpu-corpus repo=zjin-lcf/HeCBench kind=compiled arch=gfx1030 opt=O3
	.amdgcn_target "amdgcn-amd-amdhsa--gfx1030"
	.amdhsa_code_object_version 6
	.text
	.protected	_Z9boxmullerPfi         ; -- Begin function _Z9boxmullerPfi
	.globl	_Z9boxmullerPfi
	.p2align	8
	.type	_Z9boxmullerPfi,@function
_Z9boxmullerPfi:                        ; @_Z9boxmullerPfi
; %bb.0:
	s_load_dword s3, s[4:5], 0x8
	s_waitcnt lgkmcnt(0)
	s_cmp_lt_i32 s3, 1
	s_cbranch_scc1 .LBB0_11
; %bb.1:
	s_clause 0x1
	s_load_dword s0, s[4:5], 0x1c
	s_load_dwordx2 s[4:5], s[4:5], 0x0
	v_mov_b32_e32 v2, 0
	s_mov_b32 s7, 0x7fffff
	s_mov_b32 s8, 0xb94c1982
	;; [unrolled: 1-line block ×3, first 2 shown]
	s_waitcnt lgkmcnt(0)
	s_and_b32 s0, s0, 0xffff
	v_mad_u64_u32 v[0:1], null, s6, s0, v[0:1]
	s_mov_b32 s6, 0
	s_branch .LBB0_3
.LBB0_2:                                ;   in Loop: Header=BB0_3 Depth=1
	s_or_b32 exec_lo, exec_lo, s0
	v_mul_f32_e32 v6, v1, v1
	v_and_b32_e32 v12, 1, v5
	v_lshlrev_b32_e32 v5, 30, v5
	v_xor_b32_e32 v7, v8, v7
	v_add_nc_u32_e32 v0, 0x2000, v0
	v_fmaak_f32 v10, s8, v6, 0x3c0881c4
	v_fmaak_f32 v11, s9, v6, 0xbab64f3b
	v_cmp_eq_u32_e64 s0, 0, v12
	v_and_b32_e32 v5, 0x80000000, v5
	s_add_i32 s6, s6, 2
	v_fmaak_f32 v10, v6, v10, 0xbe2aaa9d
	v_fmaak_f32 v11, v6, v11, 0x3d2aabf7
	s_cmp_ge_i32 s6, s3
	v_mul_f32_e32 v10, v6, v10
	v_fmaak_f32 v11, v6, v11, 0xbf000004
	v_fmac_f32_e32 v1, v1, v10
	v_fma_f32 v6, v6, v11, 1.0
	v_cndmask_b32_e64 v1, v6, v1, s0
	v_xor3_b32 v1, v7, v5, v1
	v_cndmask_b32_e32 v1, 0x7fc00000, v1, vcc_lo
	v_mul_f32_e32 v1, v9, v1
	global_store_dword v[3:4], v1, off
	s_cbranch_scc1 .LBB0_11
.LBB0_3:                                ; =>This Inner Loop Header: Depth=1
	v_add_nc_u32_e32 v3, 0x1000, v0
	v_ashrrev_i32_e32 v1, 31, v0
                                        ; implicit-def: $vgpr10
	v_ashrrev_i32_e32 v4, 31, v3
	v_lshlrev_b64 v[5:6], 2, v[0:1]
	v_lshlrev_b64 v[3:4], 2, v[3:4]
	v_add_co_u32 v3, vcc_lo, s4, v3
	v_add_co_ci_u32_e64 v4, null, s5, v4, vcc_lo
	v_add_co_u32 v5, vcc_lo, s4, v5
	v_add_co_ci_u32_e64 v6, null, s5, v6, vcc_lo
	s_clause 0x1
	global_load_dword v1, v[3:4], off
	global_load_dword v9, v[5:6], off
	s_waitcnt vmcnt(1)
	v_mul_f32_e32 v7, 0x40c90fdb, v1
                                        ; implicit-def: $vgpr1
	v_and_b32_e32 v8, 0x7fffffff, v7
	v_cmp_ngt_f32_e64 s2, 0x48000000, |v7|
	s_and_saveexec_b32 s0, s2
	s_xor_b32 s10, exec_lo, s0
	s_cbranch_execz .LBB0_5
; %bb.4:                                ;   in Loop: Header=BB0_3 Depth=1
	v_and_or_b32 v17, v8, s7, 0x800000
	v_lshrrev_b32_e32 v15, 23, v8
	v_mad_u64_u32 v[10:11], null, 0xfe5163ab, v17, 0
	v_add_nc_u32_e32 v16, 0xffffff88, v15
	v_cmp_lt_u32_e32 vcc_lo, 63, v16
	v_mov_b32_e32 v1, v11
	v_cndmask_b32_e64 v18, 0, 0xffffffc0, vcc_lo
	v_mad_u64_u32 v[11:12], null, 0x3c439041, v17, v[1:2]
	v_add_nc_u32_e32 v18, v18, v16
	v_mov_b32_e32 v1, v12
	v_cmp_lt_u32_e64 s0, 31, v18
	v_mad_u64_u32 v[12:13], null, 0xdb629599, v17, v[1:2]
	v_cndmask_b32_e64 v19, 0, 0xffffffe0, s0
	v_add_nc_u32_e32 v18, v19, v18
	v_mov_b32_e32 v1, v13
	v_cndmask_b32_e32 v10, v12, v10, vcc_lo
	v_cmp_lt_u32_e64 s1, 31, v18
	v_mad_u64_u32 v[13:14], null, 0xf534ddc0, v17, v[1:2]
	v_mov_b32_e32 v1, v14
	v_cndmask_b32_e32 v11, v13, v11, vcc_lo
	v_mad_u64_u32 v[14:15], null, 0xfc2757d1, v17, v[1:2]
	v_cndmask_b32_e64 v10, v11, v10, s0
	v_mov_b32_e32 v1, v15
	v_mad_u64_u32 v[15:16], null, 0x4e441529, v17, v[1:2]
	v_mov_b32_e32 v1, v16
	v_cndmask_b32_e32 v19, v15, v13, vcc_lo
	v_mad_u64_u32 v[16:17], null, 0xa2f9836e, v17, v[1:2]
	v_cndmask_b32_e64 v1, 0, 0xffffffe0, s1
	v_add_nc_u32_e32 v1, v1, v18
	v_cndmask_b32_e32 v16, v16, v14, vcc_lo
	v_cndmask_b32_e32 v15, v17, v15, vcc_lo
	;; [unrolled: 1-line block ×3, first 2 shown]
	v_sub_nc_u32_e32 v17, 32, v1
	v_cndmask_b32_e64 v13, v16, v19, s0
	v_cndmask_b32_e64 v15, v15, v16, s0
	;; [unrolled: 1-line block ×4, first 2 shown]
	v_cmp_eq_u32_e32 vcc_lo, 0, v1
	v_cndmask_b32_e64 v15, v15, v13, s1
	v_cndmask_b32_e64 v13, v13, v16, s1
	;; [unrolled: 1-line block ×4, first 2 shown]
	v_alignbit_b32 v18, v15, v13, v17
	v_alignbit_b32 v12, v13, v16, v17
	v_cndmask_b32_e32 v1, v18, v15, vcc_lo
	v_cndmask_b32_e32 v11, v12, v13, vcc_lo
	v_alignbit_b32 v15, v16, v10, v17
	v_bfe_u32 v12, v1, 29, 1
	v_alignbit_b32 v13, v1, v11, 30
	v_cndmask_b32_e32 v15, v15, v16, vcc_lo
	v_sub_nc_u32_e32 v14, 0, v12
	v_alignbit_b32 v11, v11, v15, 30
	v_alignbit_b32 v10, v15, v10, 30
	v_xor_b32_e32 v13, v13, v14
	v_xor_b32_e32 v11, v11, v14
	;; [unrolled: 1-line block ×3, first 2 shown]
	v_lshrrev_b32_e32 v14, 29, v1
	v_ffbh_u32_e32 v16, v13
	v_min_u32_e32 v16, 32, v16
	v_sub_nc_u32_e32 v15, 31, v16
	v_lshlrev_b32_e32 v17, 23, v16
	v_alignbit_b32 v13, v13, v11, v15
	v_alignbit_b32 v10, v11, v10, v15
	v_lshlrev_b32_e32 v11, 31, v14
	v_alignbit_b32 v14, v13, v10, 9
	v_or_b32_e32 v15, 0.5, v11
	v_lshrrev_b32_e32 v13, 9, v13
	v_or_b32_e32 v11, 0x33000000, v11
	v_ffbh_u32_e32 v18, v14
	v_sub_nc_u32_e32 v15, v15, v17
	v_min_u32_e32 v17, 32, v18
	v_or_b32_e32 v13, v13, v15
	v_not_b32_e32 v15, v17
	v_mul_f32_e32 v18, 0x3fc90fda, v13
	v_add_lshl_u32 v16, v17, v16, 23
	v_alignbit_b32 v10, v14, v10, v15
	v_fma_f32 v14, 0x3fc90fda, v13, -v18
	v_sub_nc_u32_e32 v11, v11, v16
	v_lshrrev_b32_e32 v10, 9, v10
	v_fmac_f32_e32 v14, 0x33a22168, v13
	v_or_b32_e32 v10, v11, v10
	v_fmac_f32_e32 v14, 0x3fc90fda, v10
	v_lshrrev_b32_e32 v10, 30, v1
	v_add_f32_e32 v1, v18, v14
	v_add_nc_u32_e32 v10, v12, v10
.LBB0_5:                                ;   in Loop: Header=BB0_3 Depth=1
	s_andn2_saveexec_b32 s0, s10
; %bb.6:                                ;   in Loop: Header=BB0_3 Depth=1
	v_mul_f32_e64 v1, 0x3f22f983, |v7|
	v_rndne_f32_e32 v10, v1
	v_fma_f32 v1, 0xbfc90fda, v10, |v7|
	v_fmac_f32_e32 v1, 0xb3a22168, v10
	v_fmac_f32_e32 v1, 0xa7c234c4, v10
	v_cvt_i32_f32_e32 v10, v10
; %bb.7:                                ;   in Loop: Header=BB0_3 Depth=1
	s_or_b32 exec_lo, exec_lo, s0
	s_waitcnt vmcnt(0)
	v_cmp_gt_f32_e32 vcc_lo, 0x800000, v9
	v_and_b32_e32 v18, 1, v10
	v_lshlrev_b32_e32 v10, 30, v10
	v_cndmask_b32_e64 v11, 0, 32, vcc_lo
	v_cndmask_b32_e64 v12, 0, 0x41b17218, vcc_lo
	v_and_b32_e32 v10, 0x80000000, v10
	v_ldexp_f32 v9, v9, v11
	v_log_f32_e32 v9, v9
	v_mul_f32_e32 v11, 0x3f317217, v9
	v_cmp_gt_f32_e64 vcc_lo, 0x7f800000, |v9|
	v_fma_f32 v11, 0x3f317217, v9, -v11
	v_fmac_f32_e32 v11, 0x3377d1cf, v9
	v_fmac_f32_e32 v11, 0x3f317217, v9
	v_cndmask_b32_e32 v9, v9, v11, vcc_lo
	v_sub_f32_e32 v9, v9, v12
	v_mul_f32_e32 v12, v1, v1
	v_mul_f32_e32 v9, -2.0, v9
	v_fmaak_f32 v14, s8, v12, 0x3c0881c4
	v_fmaak_f32 v15, s9, v12, 0xbab64f3b
	v_mul_f32_e32 v11, 0x4f800000, v9
	v_cmp_gt_f32_e32 vcc_lo, 0xf800000, v9
	v_fmaak_f32 v14, v12, v14, 0xbe2aaa9d
	v_fmaak_f32 v15, v12, v15, 0x3d2aabf7
	v_cndmask_b32_e32 v9, v9, v11, vcc_lo
	v_sqrt_f32_e32 v11, v9
	v_add_nc_u32_e32 v13, -1, v11
	v_add_nc_u32_e32 v16, 1, v11
	v_fma_f32 v17, -v13, v11, v9
	v_fma_f32 v19, -v16, v11, v9
	v_cmp_ge_f32_e64 s0, 0, v17
	v_cndmask_b32_e64 v11, v11, v13, s0
	v_cmp_lt_f32_e64 s0, 0, v19
	v_mul_f32_e32 v13, v12, v14
	v_fmaak_f32 v14, v12, v15, 0xbf000004
	v_cndmask_b32_e64 v11, v11, v16, s0
	v_fmac_f32_e32 v1, v1, v13
	v_fma_f32 v12, v12, v14, 1.0
	v_cmp_eq_u32_e64 s0, 0, v18
	v_mul_f32_e32 v13, 0x37800000, v11
	v_cndmask_b32_e64 v1, -v1, v12, s0
	v_cndmask_b32_e32 v11, v11, v13, vcc_lo
	v_cmp_class_f32_e64 vcc_lo, v9, 0x260
	v_xor_b32_e32 v1, v10, v1
	v_cndmask_b32_e32 v9, v11, v9, vcc_lo
	v_cmp_class_f32_e64 vcc_lo, v7, 0x1f8
	v_cndmask_b32_e32 v1, 0x7fc00000, v1, vcc_lo
	v_mul_f32_e32 v1, v9, v1
	global_store_dword v[5:6], v1, off
                                        ; implicit-def: $vgpr5
                                        ; implicit-def: $vgpr1
	s_and_saveexec_b32 s0, s2
	s_xor_b32 s10, exec_lo, s0
	s_cbranch_execz .LBB0_9
; %bb.8:                                ;   in Loop: Header=BB0_3 Depth=1
	v_and_or_b32 v16, v8, s7, 0x800000
	v_mad_u64_u32 v[5:6], null, 0xfe5163ab, v16, 0
	v_mov_b32_e32 v1, v6
	v_lshrrev_b32_e32 v6, 23, v8
	v_mad_u64_u32 v[10:11], null, 0x3c439041, v16, v[1:2]
	v_add_nc_u32_e32 v6, 0xffffff88, v6
	v_cmp_lt_u32_e64 s0, 63, v6
	v_mov_b32_e32 v1, v11
	v_cndmask_b32_e64 v15, 0, 0xffffffc0, s0
	v_mad_u64_u32 v[11:12], null, 0xdb629599, v16, v[1:2]
	v_add_nc_u32_e32 v6, v15, v6
	v_mov_b32_e32 v1, v12
	v_cmp_lt_u32_e64 s1, 31, v6
	v_cndmask_b32_e64 v5, v11, v5, s0
	v_mad_u64_u32 v[12:13], null, 0xf534ddc0, v16, v[1:2]
	v_cndmask_b32_e64 v17, 0, 0xffffffe0, s1
	v_add_nc_u32_e32 v6, v17, v6
	v_mov_b32_e32 v1, v13
	v_cmp_lt_u32_e64 s2, 31, v6
	v_mad_u64_u32 v[13:14], null, 0xfc2757d1, v16, v[1:2]
	v_mov_b32_e32 v1, v14
	v_mad_u64_u32 v[14:15], null, 0x4e441529, v16, v[1:2]
	v_mov_b32_e32 v1, v15
	v_cndmask_b32_e64 v17, v14, v12, s0
	v_mad_u64_u32 v[15:16], null, 0xa2f9836e, v16, v[1:2]
	v_cndmask_b32_e64 v1, 0, 0xffffffe0, s2
	v_add_nc_u32_e32 v1, v1, v6
	v_cndmask_b32_e64 v15, v15, v13, s0
	v_cndmask_b32_e64 v14, v16, v14, s0
	v_cndmask_b32_e64 v13, v13, v11, s0
	v_cndmask_b32_e64 v6, v12, v10, s0
	v_cmp_eq_u32_e64 s0, 0, v1
	v_cndmask_b32_e64 v10, v15, v17, s1
	v_cndmask_b32_e64 v12, v14, v15, s1
	;; [unrolled: 1-line block ×3, first 2 shown]
	v_sub_nc_u32_e32 v15, 32, v1
	v_cndmask_b32_e64 v13, v13, v6, s1
	v_cndmask_b32_e64 v5, v6, v5, s1
	v_cndmask_b32_e64 v12, v12, v10, s2
	v_cndmask_b32_e64 v10, v10, v14, s2
	v_cndmask_b32_e64 v14, v14, v13, s2
	v_cndmask_b32_e64 v5, v13, v5, s2
	v_alignbit_b32 v16, v12, v10, v15
	v_alignbit_b32 v11, v10, v14, v15
	;; [unrolled: 1-line block ×3, first 2 shown]
	v_cndmask_b32_e64 v1, v16, v12, s0
	v_cndmask_b32_e64 v6, v11, v10, s0
	;; [unrolled: 1-line block ×3, first 2 shown]
	v_bfe_u32 v10, v1, 29, 1
	v_alignbit_b32 v11, v1, v6, 30
	v_alignbit_b32 v6, v6, v13, 30
	;; [unrolled: 1-line block ×3, first 2 shown]
	v_sub_nc_u32_e32 v12, 0, v10
	v_xor_b32_e32 v11, v11, v12
	v_xor_b32_e32 v6, v6, v12
	;; [unrolled: 1-line block ×3, first 2 shown]
	v_lshrrev_b32_e32 v12, 29, v1
	v_ffbh_u32_e32 v14, v11
	v_min_u32_e32 v14, 32, v14
	v_sub_nc_u32_e32 v13, 31, v14
	v_lshlrev_b32_e32 v15, 23, v14
	v_alignbit_b32 v11, v11, v6, v13
	v_alignbit_b32 v5, v6, v5, v13
	v_lshlrev_b32_e32 v6, 31, v12
	v_alignbit_b32 v12, v11, v5, 9
	v_or_b32_e32 v13, 0.5, v6
	v_lshrrev_b32_e32 v11, 9, v11
	v_or_b32_e32 v6, 0x33000000, v6
	v_ffbh_u32_e32 v16, v12
	v_sub_nc_u32_e32 v13, v13, v15
	v_min_u32_e32 v15, 32, v16
	v_or_b32_e32 v11, v11, v13
	v_not_b32_e32 v13, v15
	v_mul_f32_e32 v16, 0x3fc90fda, v11
	v_add_lshl_u32 v14, v15, v14, 23
	v_alignbit_b32 v5, v12, v5, v13
	v_fma_f32 v12, 0x3fc90fda, v11, -v16
	v_sub_nc_u32_e32 v6, v6, v14
	v_lshrrev_b32_e32 v5, 9, v5
	v_fmac_f32_e32 v12, 0x33a22168, v11
	v_or_b32_e32 v5, v6, v5
	v_fmac_f32_e32 v12, 0x3fc90fda, v5
	v_lshrrev_b32_e32 v5, 30, v1
	v_add_f32_e32 v1, v16, v12
	v_add_nc_u32_e32 v5, v10, v5
.LBB0_9:                                ;   in Loop: Header=BB0_3 Depth=1
	s_andn2_saveexec_b32 s0, s10
	s_cbranch_execz .LBB0_2
; %bb.10:                               ;   in Loop: Header=BB0_3 Depth=1
	v_mul_f32_e64 v1, 0x3f22f983, |v7|
	v_rndne_f32_e32 v5, v1
	v_fma_f32 v1, 0xbfc90fda, v5, |v7|
	v_fmac_f32_e32 v1, 0xb3a22168, v5
	v_fmac_f32_e32 v1, 0xa7c234c4, v5
	v_cvt_i32_f32_e32 v5, v5
	s_branch .LBB0_2
.LBB0_11:
	s_endpgm
	.section	.rodata,"a",@progbits
	.p2align	6, 0x0
	.amdhsa_kernel _Z9boxmullerPfi
		.amdhsa_group_segment_fixed_size 0
		.amdhsa_private_segment_fixed_size 0
		.amdhsa_kernarg_size 272
		.amdhsa_user_sgpr_count 6
		.amdhsa_user_sgpr_private_segment_buffer 1
		.amdhsa_user_sgpr_dispatch_ptr 0
		.amdhsa_user_sgpr_queue_ptr 0
		.amdhsa_user_sgpr_kernarg_segment_ptr 1
		.amdhsa_user_sgpr_dispatch_id 0
		.amdhsa_user_sgpr_flat_scratch_init 0
		.amdhsa_user_sgpr_private_segment_size 0
		.amdhsa_wavefront_size32 1
		.amdhsa_uses_dynamic_stack 0
		.amdhsa_system_sgpr_private_segment_wavefront_offset 0
		.amdhsa_system_sgpr_workgroup_id_x 1
		.amdhsa_system_sgpr_workgroup_id_y 0
		.amdhsa_system_sgpr_workgroup_id_z 0
		.amdhsa_system_sgpr_workgroup_info 0
		.amdhsa_system_vgpr_workitem_id 0
		.amdhsa_next_free_vgpr 20
		.amdhsa_next_free_sgpr 11
		.amdhsa_reserve_vcc 1
		.amdhsa_reserve_flat_scratch 0
		.amdhsa_float_round_mode_32 0
		.amdhsa_float_round_mode_16_64 0
		.amdhsa_float_denorm_mode_32 3
		.amdhsa_float_denorm_mode_16_64 3
		.amdhsa_dx10_clamp 1
		.amdhsa_ieee_mode 1
		.amdhsa_fp16_overflow 0
		.amdhsa_workgroup_processor_mode 1
		.amdhsa_memory_ordered 1
		.amdhsa_forward_progress 1
		.amdhsa_shared_vgpr_count 0
		.amdhsa_exception_fp_ieee_invalid_op 0
		.amdhsa_exception_fp_denorm_src 0
		.amdhsa_exception_fp_ieee_div_zero 0
		.amdhsa_exception_fp_ieee_overflow 0
		.amdhsa_exception_fp_ieee_underflow 0
		.amdhsa_exception_fp_ieee_inexact 0
		.amdhsa_exception_int_div_zero 0
	.end_amdhsa_kernel
	.text
.Lfunc_end0:
	.size	_Z9boxmullerPfi, .Lfunc_end0-_Z9boxmullerPfi
                                        ; -- End function
	.set _Z9boxmullerPfi.num_vgpr, 20
	.set _Z9boxmullerPfi.num_agpr, 0
	.set _Z9boxmullerPfi.numbered_sgpr, 11
	.set _Z9boxmullerPfi.num_named_barrier, 0
	.set _Z9boxmullerPfi.private_seg_size, 0
	.set _Z9boxmullerPfi.uses_vcc, 1
	.set _Z9boxmullerPfi.uses_flat_scratch, 0
	.set _Z9boxmullerPfi.has_dyn_sized_stack, 0
	.set _Z9boxmullerPfi.has_recursion, 0
	.set _Z9boxmullerPfi.has_indirect_call, 0
	.section	.AMDGPU.csdata,"",@progbits
; Kernel info:
; codeLenInByte = 1984
; TotalNumSgprs: 13
; NumVgprs: 20
; ScratchSize: 0
; MemoryBound: 0
; FloatMode: 240
; IeeeMode: 1
; LDSByteSize: 0 bytes/workgroup (compile time only)
; SGPRBlocks: 0
; VGPRBlocks: 2
; NumSGPRsForWavesPerEU: 13
; NumVGPRsForWavesPerEU: 20
; Occupancy: 16
; WaveLimiterHint : 0
; COMPUTE_PGM_RSRC2:SCRATCH_EN: 0
; COMPUTE_PGM_RSRC2:USER_SGPR: 6
; COMPUTE_PGM_RSRC2:TRAP_HANDLER: 0
; COMPUTE_PGM_RSRC2:TGID_X_EN: 1
; COMPUTE_PGM_RSRC2:TGID_Y_EN: 0
; COMPUTE_PGM_RSRC2:TGID_Z_EN: 0
; COMPUTE_PGM_RSRC2:TIDIG_COMP_CNT: 0
	.text
	.protected	_Z2mtPK18mt_struct_strippedPfi ; -- Begin function _Z2mtPK18mt_struct_strippedPfi
	.globl	_Z2mtPK18mt_struct_strippedPfi
	.p2align	8
	.type	_Z2mtPK18mt_struct_strippedPfi,@function
_Z2mtPK18mt_struct_strippedPfi:         ; @_Z2mtPK18mt_struct_strippedPfi
; %bb.0:
	s_load_dword s7, s[4:5], 0x10
	s_waitcnt lgkmcnt(0)
	s_cmp_lt_i32 s7, 1
	s_cbranch_scc1 .LBB1_3
; %bb.1:
	s_clause 0x1
	s_load_dword s8, s[4:5], 0x24
	s_load_dwordx4 s[0:3], s[4:5], 0x0
	s_waitcnt lgkmcnt(0)
	s_and_b32 s4, s8, 0xffff
	v_mad_u64_u32 v[36:37], null, s6, s4, v[0:1]
	v_ashrrev_i32_e32 v37, 31, v36
	v_lshlrev_b64 v[0:1], 4, v[36:37]
	v_add_co_u32 v0, vcc_lo, s0, v0
	v_add_co_ci_u32_e64 v1, null, s1, v1, vcc_lo
	s_mov_b32 s0, 0
	global_load_dwordx4 v[32:35], v[0:1], off
	s_waitcnt vmcnt(0)
	v_lshrrev_b32_e32 v0, 30, v35
	v_xor_b32_e32 v0, v0, v35
	v_mad_u64_u32 v[1:2], null, 0x6c078965, v0, 1
	v_lshrrev_b32_e32 v0, 30, v1
	v_xor_b32_e32 v0, v0, v1
	v_mad_u64_u32 v[2:3], null, 0x6c078965, v0, 2
	;; [unrolled: 3-line block ×18, first 2 shown]
	v_mov_b32_e32 v0, v35
.LBB1_2:                                ; =>This Inner Loop Header: Depth=1
	s_cmp_gt_i32 s0, 17
	v_lshrrev_b32_e32 v19, 1, v35
	s_cselect_b32 s1, 0xffffffee, 1
	v_ashrrev_i32_e32 v37, 31, v36
	s_add_i32 s1, s1, s0
	s_cmp_gt_i32 s0, 9
	s_mov_b32 m0, s1
	s_cselect_b32 s4, -10, 9
	v_movrels_b32_e32 v21, v0
	s_add_i32 s4, s4, s0
	s_add_i32 s7, s7, -1
	s_mov_b32 m0, s4
	s_cmp_lg_u32 s7, 0
	v_bfe_i32 v20, v21, 0, 1
	v_movrels_b32_e32 v22, v0
	v_mov_b32_e32 v35, v21
	s_mov_b32 m0, s0
	s_mov_b32 s0, s1
	v_and_b32_e32 v20, v20, v32
	v_xor3_b32 v22, v22, v19, v20
	v_lshrrev_b32_e32 v19, 12, v22
	v_xor_b32_e32 v19, v19, v22
	v_lshlrev_b32_e32 v20, 7, v19
	v_and_b32_e32 v20, v20, v33
	v_xor_b32_e32 v19, v20, v19
	v_lshlrev_b32_e32 v20, 15, v19
	v_and_b32_e32 v20, v20, v34
	v_xor_b32_e32 v23, v20, v19
	v_lshlrev_b64 v[19:20], 2, v[36:37]
	v_add_nc_u32_e32 v36, 0x1000, v36
	v_lshrrev_b32_e32 v24, 18, v23
	v_add_co_u32 v37, vcc_lo, s2, v19
	v_add_co_ci_u32_e64 v38, null, s3, v20, vcc_lo
	v_xor_b32_e32 v23, v24, v23
	v_cvt_f32_u32_e32 v23, v23
	v_add_f32_e32 v19, 1.0, v23
	v_mul_f32_e32 v39, 0x2f800000, v19
	v_movreld_b32_e32 v0, v22
	global_store_dword v[37:38], v39, off
	s_cbranch_scc1 .LBB1_2
.LBB1_3:
	s_endpgm
	.section	.rodata,"a",@progbits
	.p2align	6, 0x0
	.amdhsa_kernel _Z2mtPK18mt_struct_strippedPfi
		.amdhsa_group_segment_fixed_size 0
		.amdhsa_private_segment_fixed_size 0
		.amdhsa_kernarg_size 280
		.amdhsa_user_sgpr_count 6
		.amdhsa_user_sgpr_private_segment_buffer 1
		.amdhsa_user_sgpr_dispatch_ptr 0
		.amdhsa_user_sgpr_queue_ptr 0
		.amdhsa_user_sgpr_kernarg_segment_ptr 1
		.amdhsa_user_sgpr_dispatch_id 0
		.amdhsa_user_sgpr_flat_scratch_init 0
		.amdhsa_user_sgpr_private_segment_size 0
		.amdhsa_wavefront_size32 1
		.amdhsa_uses_dynamic_stack 0
		.amdhsa_system_sgpr_private_segment_wavefront_offset 0
		.amdhsa_system_sgpr_workgroup_id_x 1
		.amdhsa_system_sgpr_workgroup_id_y 0
		.amdhsa_system_sgpr_workgroup_id_z 0
		.amdhsa_system_sgpr_workgroup_info 0
		.amdhsa_system_vgpr_workitem_id 0
		.amdhsa_next_free_vgpr 40
		.amdhsa_next_free_sgpr 9
		.amdhsa_reserve_vcc 1
		.amdhsa_reserve_flat_scratch 0
		.amdhsa_float_round_mode_32 0
		.amdhsa_float_round_mode_16_64 0
		.amdhsa_float_denorm_mode_32 3
		.amdhsa_float_denorm_mode_16_64 3
		.amdhsa_dx10_clamp 1
		.amdhsa_ieee_mode 1
		.amdhsa_fp16_overflow 0
		.amdhsa_workgroup_processor_mode 1
		.amdhsa_memory_ordered 1
		.amdhsa_forward_progress 1
		.amdhsa_shared_vgpr_count 0
		.amdhsa_exception_fp_ieee_invalid_op 0
		.amdhsa_exception_fp_denorm_src 0
		.amdhsa_exception_fp_ieee_div_zero 0
		.amdhsa_exception_fp_ieee_overflow 0
		.amdhsa_exception_fp_ieee_underflow 0
		.amdhsa_exception_fp_ieee_inexact 0
		.amdhsa_exception_int_div_zero 0
	.end_amdhsa_kernel
	.text
.Lfunc_end1:
	.size	_Z2mtPK18mt_struct_strippedPfi, .Lfunc_end1-_Z2mtPK18mt_struct_strippedPfi
                                        ; -- End function
	.set _Z2mtPK18mt_struct_strippedPfi.num_vgpr, 40
	.set _Z2mtPK18mt_struct_strippedPfi.num_agpr, 0
	.set _Z2mtPK18mt_struct_strippedPfi.numbered_sgpr, 9
	.set _Z2mtPK18mt_struct_strippedPfi.num_named_barrier, 0
	.set _Z2mtPK18mt_struct_strippedPfi.private_seg_size, 0
	.set _Z2mtPK18mt_struct_strippedPfi.uses_vcc, 1
	.set _Z2mtPK18mt_struct_strippedPfi.uses_flat_scratch, 0
	.set _Z2mtPK18mt_struct_strippedPfi.has_dyn_sized_stack, 0
	.set _Z2mtPK18mt_struct_strippedPfi.has_recursion, 0
	.set _Z2mtPK18mt_struct_strippedPfi.has_indirect_call, 0
	.section	.AMDGPU.csdata,"",@progbits
; Kernel info:
; codeLenInByte = 668
; TotalNumSgprs: 11
; NumVgprs: 40
; ScratchSize: 0
; MemoryBound: 0
; FloatMode: 240
; IeeeMode: 1
; LDSByteSize: 0 bytes/workgroup (compile time only)
; SGPRBlocks: 0
; VGPRBlocks: 4
; NumSGPRsForWavesPerEU: 11
; NumVGPRsForWavesPerEU: 40
; Occupancy: 16
; WaveLimiterHint : 0
; COMPUTE_PGM_RSRC2:SCRATCH_EN: 0
; COMPUTE_PGM_RSRC2:USER_SGPR: 6
; COMPUTE_PGM_RSRC2:TRAP_HANDLER: 0
; COMPUTE_PGM_RSRC2:TGID_X_EN: 1
; COMPUTE_PGM_RSRC2:TGID_Y_EN: 0
; COMPUTE_PGM_RSRC2:TGID_Z_EN: 0
; COMPUTE_PGM_RSRC2:TIDIG_COMP_CNT: 0
	.text
	.p2alignl 6, 3214868480
	.fill 48, 4, 3214868480
	.section	.AMDGPU.gpr_maximums,"",@progbits
	.set amdgpu.max_num_vgpr, 0
	.set amdgpu.max_num_agpr, 0
	.set amdgpu.max_num_sgpr, 0
	.text
	.type	__hip_cuid_7d0189e910597e9c,@object ; @__hip_cuid_7d0189e910597e9c
	.section	.bss,"aw",@nobits
	.globl	__hip_cuid_7d0189e910597e9c
__hip_cuid_7d0189e910597e9c:
	.byte	0                               ; 0x0
	.size	__hip_cuid_7d0189e910597e9c, 1

	.ident	"AMD clang version 22.0.0git (https://github.com/RadeonOpenCompute/llvm-project roc-7.2.4 26084 f58b06dce1f9c15707c5f808fd002e18c2accf7e)"
	.section	".note.GNU-stack","",@progbits
	.addrsig
	.addrsig_sym __hip_cuid_7d0189e910597e9c
	.amdgpu_metadata
---
amdhsa.kernels:
  - .args:
      - .address_space:  global
        .offset:         0
        .size:           8
        .value_kind:     global_buffer
      - .offset:         8
        .size:           4
        .value_kind:     by_value
      - .offset:         16
        .size:           4
        .value_kind:     hidden_block_count_x
      - .offset:         20
        .size:           4
        .value_kind:     hidden_block_count_y
      - .offset:         24
        .size:           4
        .value_kind:     hidden_block_count_z
      - .offset:         28
        .size:           2
        .value_kind:     hidden_group_size_x
      - .offset:         30
        .size:           2
        .value_kind:     hidden_group_size_y
      - .offset:         32
        .size:           2
        .value_kind:     hidden_group_size_z
      - .offset:         34
        .size:           2
        .value_kind:     hidden_remainder_x
      - .offset:         36
        .size:           2
        .value_kind:     hidden_remainder_y
      - .offset:         38
        .size:           2
        .value_kind:     hidden_remainder_z
      - .offset:         56
        .size:           8
        .value_kind:     hidden_global_offset_x
      - .offset:         64
        .size:           8
        .value_kind:     hidden_global_offset_y
      - .offset:         72
        .size:           8
        .value_kind:     hidden_global_offset_z
      - .offset:         80
        .size:           2
        .value_kind:     hidden_grid_dims
    .group_segment_fixed_size: 0
    .kernarg_segment_align: 8
    .kernarg_segment_size: 272
    .language:       OpenCL C
    .language_version:
      - 2
      - 0
    .max_flat_workgroup_size: 1024
    .name:           _Z9boxmullerPfi
    .private_segment_fixed_size: 0
    .sgpr_count:     13
    .sgpr_spill_count: 0
    .symbol:         _Z9boxmullerPfi.kd
    .uniform_work_group_size: 1
    .uses_dynamic_stack: false
    .vgpr_count:     20
    .vgpr_spill_count: 0
    .wavefront_size: 32
    .workgroup_processor_mode: 1
  - .args:
      - .address_space:  global
        .offset:         0
        .size:           8
        .value_kind:     global_buffer
      - .address_space:  global
        .offset:         8
        .size:           8
        .value_kind:     global_buffer
      - .offset:         16
        .size:           4
        .value_kind:     by_value
      - .offset:         24
        .size:           4
        .value_kind:     hidden_block_count_x
      - .offset:         28
        .size:           4
        .value_kind:     hidden_block_count_y
      - .offset:         32
        .size:           4
        .value_kind:     hidden_block_count_z
      - .offset:         36
        .size:           2
        .value_kind:     hidden_group_size_x
      - .offset:         38
        .size:           2
        .value_kind:     hidden_group_size_y
      - .offset:         40
        .size:           2
        .value_kind:     hidden_group_size_z
      - .offset:         42
        .size:           2
        .value_kind:     hidden_remainder_x
      - .offset:         44
        .size:           2
        .value_kind:     hidden_remainder_y
      - .offset:         46
        .size:           2
        .value_kind:     hidden_remainder_z
      - .offset:         64
        .size:           8
        .value_kind:     hidden_global_offset_x
      - .offset:         72
        .size:           8
        .value_kind:     hidden_global_offset_y
      - .offset:         80
        .size:           8
        .value_kind:     hidden_global_offset_z
      - .offset:         88
        .size:           2
        .value_kind:     hidden_grid_dims
    .group_segment_fixed_size: 0
    .kernarg_segment_align: 8
    .kernarg_segment_size: 280
    .language:       OpenCL C
    .language_version:
      - 2
      - 0
    .max_flat_workgroup_size: 1024
    .name:           _Z2mtPK18mt_struct_strippedPfi
    .private_segment_fixed_size: 0
    .sgpr_count:     11
    .sgpr_spill_count: 0
    .symbol:         _Z2mtPK18mt_struct_strippedPfi.kd
    .uniform_work_group_size: 1
    .uses_dynamic_stack: false
    .vgpr_count:     40
    .vgpr_spill_count: 0
    .wavefront_size: 32
    .workgroup_processor_mode: 1
amdhsa.target:   amdgcn-amd-amdhsa--gfx1030
amdhsa.version:
  - 1
  - 2
...

	.end_amdgpu_metadata
